;; amdgpu-corpus repo=ROCm/rocFFT kind=compiled arch=gfx906 opt=O3
	.text
	.amdgcn_target "amdgcn-amd-amdhsa--gfx906"
	.amdhsa_code_object_version 6
	.protected	fft_rtc_back_len726_factors_11_6_11_wgs_132_tpt_66_dp_op_CI_CI_unitstride_sbrr_C2R_dirReg ; -- Begin function fft_rtc_back_len726_factors_11_6_11_wgs_132_tpt_66_dp_op_CI_CI_unitstride_sbrr_C2R_dirReg
	.globl	fft_rtc_back_len726_factors_11_6_11_wgs_132_tpt_66_dp_op_CI_CI_unitstride_sbrr_C2R_dirReg
	.p2align	8
	.type	fft_rtc_back_len726_factors_11_6_11_wgs_132_tpt_66_dp_op_CI_CI_unitstride_sbrr_C2R_dirReg,@function
fft_rtc_back_len726_factors_11_6_11_wgs_132_tpt_66_dp_op_CI_CI_unitstride_sbrr_C2R_dirReg: ; @fft_rtc_back_len726_factors_11_6_11_wgs_132_tpt_66_dp_op_CI_CI_unitstride_sbrr_C2R_dirReg
; %bb.0:
	s_load_dwordx4 s[8:11], s[4:5], 0x58
	s_load_dwordx4 s[12:15], s[4:5], 0x0
	;; [unrolled: 1-line block ×3, first 2 shown]
	v_mul_u32_u24_e32 v1, 0x3e1, v0
	v_lshrrev_b32_e32 v7, 16, v1
	v_mov_b32_e32 v3, 0
	s_waitcnt lgkmcnt(0)
	v_cmp_lt_u64_e64 s[0:1], s[14:15], 2
	v_mov_b32_e32 v1, 0
	v_lshl_add_u32 v5, s6, 1, v7
	v_mov_b32_e32 v6, v3
	s_and_b64 vcc, exec, s[0:1]
	v_mov_b32_e32 v2, 0
	s_cbranch_vccnz .LBB0_8
; %bb.1:
	s_load_dwordx2 s[0:1], s[4:5], 0x10
	s_add_u32 s2, s18, 8
	s_addc_u32 s3, s19, 0
	s_add_u32 s6, s16, 8
	v_mov_b32_e32 v1, 0
	s_addc_u32 s7, s17, 0
	v_mov_b32_e32 v2, 0
	s_waitcnt lgkmcnt(0)
	s_add_u32 s20, s0, 8
	v_mov_b32_e32 v49, v2
	s_addc_u32 s21, s1, 0
	s_mov_b64 s[22:23], 1
	v_mov_b32_e32 v48, v1
.LBB0_2:                                ; =>This Inner Loop Header: Depth=1
	s_load_dwordx2 s[24:25], s[20:21], 0x0
                                        ; implicit-def: $vgpr50_vgpr51
	s_waitcnt lgkmcnt(0)
	v_or_b32_e32 v4, s25, v6
	v_cmp_ne_u64_e32 vcc, 0, v[3:4]
	s_and_saveexec_b64 s[0:1], vcc
	s_xor_b64 s[26:27], exec, s[0:1]
	s_cbranch_execz .LBB0_4
; %bb.3:                                ;   in Loop: Header=BB0_2 Depth=1
	v_cvt_f32_u32_e32 v4, s24
	v_cvt_f32_u32_e32 v8, s25
	s_sub_u32 s0, 0, s24
	s_subb_u32 s1, 0, s25
	v_mac_f32_e32 v4, 0x4f800000, v8
	v_rcp_f32_e32 v4, v4
	v_mul_f32_e32 v4, 0x5f7ffffc, v4
	v_mul_f32_e32 v8, 0x2f800000, v4
	v_trunc_f32_e32 v8, v8
	v_mac_f32_e32 v4, 0xcf800000, v8
	v_cvt_u32_f32_e32 v8, v8
	v_cvt_u32_f32_e32 v4, v4
	v_mul_lo_u32 v9, s0, v8
	v_mul_hi_u32 v10, s0, v4
	v_mul_lo_u32 v12, s1, v4
	v_mul_lo_u32 v11, s0, v4
	v_add_u32_e32 v9, v10, v9
	v_add_u32_e32 v9, v9, v12
	v_mul_hi_u32 v10, v4, v11
	v_mul_lo_u32 v12, v4, v9
	v_mul_hi_u32 v14, v4, v9
	v_mul_hi_u32 v13, v8, v11
	v_mul_lo_u32 v11, v8, v11
	v_mul_hi_u32 v15, v8, v9
	v_add_co_u32_e32 v10, vcc, v10, v12
	v_addc_co_u32_e32 v12, vcc, 0, v14, vcc
	v_mul_lo_u32 v9, v8, v9
	v_add_co_u32_e32 v10, vcc, v10, v11
	v_addc_co_u32_e32 v10, vcc, v12, v13, vcc
	v_addc_co_u32_e32 v11, vcc, 0, v15, vcc
	v_add_co_u32_e32 v9, vcc, v10, v9
	v_addc_co_u32_e32 v10, vcc, 0, v11, vcc
	v_add_co_u32_e32 v4, vcc, v4, v9
	v_addc_co_u32_e32 v8, vcc, v8, v10, vcc
	v_mul_lo_u32 v9, s0, v8
	v_mul_hi_u32 v10, s0, v4
	v_mul_lo_u32 v11, s1, v4
	v_mul_lo_u32 v12, s0, v4
	v_add_u32_e32 v9, v10, v9
	v_add_u32_e32 v9, v9, v11
	v_mul_lo_u32 v13, v4, v9
	v_mul_hi_u32 v14, v4, v12
	v_mul_hi_u32 v15, v4, v9
	;; [unrolled: 1-line block ×3, first 2 shown]
	v_mul_lo_u32 v12, v8, v12
	v_mul_hi_u32 v10, v8, v9
	v_add_co_u32_e32 v13, vcc, v14, v13
	v_addc_co_u32_e32 v14, vcc, 0, v15, vcc
	v_mul_lo_u32 v9, v8, v9
	v_add_co_u32_e32 v12, vcc, v13, v12
	v_addc_co_u32_e32 v11, vcc, v14, v11, vcc
	v_addc_co_u32_e32 v10, vcc, 0, v10, vcc
	v_add_co_u32_e32 v9, vcc, v11, v9
	v_addc_co_u32_e32 v10, vcc, 0, v10, vcc
	v_add_co_u32_e32 v4, vcc, v4, v9
	v_addc_co_u32_e32 v10, vcc, v8, v10, vcc
	v_mad_u64_u32 v[8:9], s[0:1], v5, v10, 0
	v_mul_hi_u32 v11, v5, v4
	v_add_co_u32_e32 v12, vcc, v11, v8
	v_addc_co_u32_e32 v13, vcc, 0, v9, vcc
	v_mad_u64_u32 v[8:9], s[0:1], v6, v4, 0
	v_mad_u64_u32 v[10:11], s[0:1], v6, v10, 0
	v_add_co_u32_e32 v4, vcc, v12, v8
	v_addc_co_u32_e32 v4, vcc, v13, v9, vcc
	v_addc_co_u32_e32 v8, vcc, 0, v11, vcc
	v_add_co_u32_e32 v4, vcc, v4, v10
	v_addc_co_u32_e32 v10, vcc, 0, v8, vcc
	v_mul_lo_u32 v11, s25, v4
	v_mul_lo_u32 v12, s24, v10
	v_mad_u64_u32 v[8:9], s[0:1], s24, v4, 0
	v_add3_u32 v9, v9, v12, v11
	v_sub_u32_e32 v11, v6, v9
	v_mov_b32_e32 v12, s25
	v_sub_co_u32_e32 v8, vcc, v5, v8
	v_subb_co_u32_e64 v11, s[0:1], v11, v12, vcc
	v_subrev_co_u32_e64 v12, s[0:1], s24, v8
	v_subbrev_co_u32_e64 v11, s[0:1], 0, v11, s[0:1]
	v_cmp_le_u32_e64 s[0:1], s25, v11
	v_cndmask_b32_e64 v13, 0, -1, s[0:1]
	v_cmp_le_u32_e64 s[0:1], s24, v12
	v_cndmask_b32_e64 v12, 0, -1, s[0:1]
	v_cmp_eq_u32_e64 s[0:1], s25, v11
	v_cndmask_b32_e64 v11, v13, v12, s[0:1]
	v_add_co_u32_e64 v12, s[0:1], 2, v4
	v_addc_co_u32_e64 v13, s[0:1], 0, v10, s[0:1]
	v_add_co_u32_e64 v14, s[0:1], 1, v4
	v_addc_co_u32_e64 v15, s[0:1], 0, v10, s[0:1]
	v_subb_co_u32_e32 v9, vcc, v6, v9, vcc
	v_cmp_ne_u32_e64 s[0:1], 0, v11
	v_cmp_le_u32_e32 vcc, s25, v9
	v_cndmask_b32_e64 v11, v15, v13, s[0:1]
	v_cndmask_b32_e64 v13, 0, -1, vcc
	v_cmp_le_u32_e32 vcc, s24, v8
	v_cndmask_b32_e64 v8, 0, -1, vcc
	v_cmp_eq_u32_e32 vcc, s25, v9
	v_cndmask_b32_e32 v8, v13, v8, vcc
	v_cmp_ne_u32_e32 vcc, 0, v8
	v_cndmask_b32_e64 v8, v14, v12, s[0:1]
	v_cndmask_b32_e32 v51, v10, v11, vcc
	v_cndmask_b32_e32 v50, v4, v8, vcc
.LBB0_4:                                ;   in Loop: Header=BB0_2 Depth=1
	s_andn2_saveexec_b64 s[0:1], s[26:27]
	s_cbranch_execz .LBB0_6
; %bb.5:                                ;   in Loop: Header=BB0_2 Depth=1
	v_cvt_f32_u32_e32 v4, s24
	s_sub_i32 s26, 0, s24
	v_mov_b32_e32 v51, v3
	v_rcp_iflag_f32_e32 v4, v4
	v_mul_f32_e32 v4, 0x4f7ffffe, v4
	v_cvt_u32_f32_e32 v4, v4
	v_mul_lo_u32 v8, s26, v4
	v_mul_hi_u32 v8, v4, v8
	v_add_u32_e32 v4, v4, v8
	v_mul_hi_u32 v4, v5, v4
	v_mul_lo_u32 v8, v4, s24
	v_add_u32_e32 v9, 1, v4
	v_sub_u32_e32 v8, v5, v8
	v_subrev_u32_e32 v10, s24, v8
	v_cmp_le_u32_e32 vcc, s24, v8
	v_cndmask_b32_e32 v8, v8, v10, vcc
	v_cndmask_b32_e32 v4, v4, v9, vcc
	v_add_u32_e32 v9, 1, v4
	v_cmp_le_u32_e32 vcc, s24, v8
	v_cndmask_b32_e32 v50, v4, v9, vcc
.LBB0_6:                                ;   in Loop: Header=BB0_2 Depth=1
	s_or_b64 exec, exec, s[0:1]
	v_mul_lo_u32 v4, v51, s24
	v_mul_lo_u32 v10, v50, s25
	v_mad_u64_u32 v[8:9], s[0:1], v50, s24, 0
	s_load_dwordx2 s[0:1], s[6:7], 0x0
	s_load_dwordx2 s[24:25], s[2:3], 0x0
	v_add3_u32 v4, v9, v10, v4
	v_sub_co_u32_e32 v5, vcc, v5, v8
	v_subb_co_u32_e32 v4, vcc, v6, v4, vcc
	s_waitcnt lgkmcnt(0)
	v_mul_lo_u32 v6, s0, v4
	v_mul_lo_u32 v8, s1, v5
	v_mad_u64_u32 v[1:2], s[0:1], s0, v5, v[1:2]
	v_mul_lo_u32 v4, s24, v4
	v_mul_lo_u32 v9, s25, v5
	v_mad_u64_u32 v[48:49], s[0:1], s24, v5, v[48:49]
	s_add_u32 s22, s22, 1
	s_addc_u32 s23, s23, 0
	s_add_u32 s2, s2, 8
	v_add3_u32 v49, v9, v49, v4
	s_addc_u32 s3, s3, 0
	v_mov_b32_e32 v4, s14
	s_add_u32 s6, s6, 8
	v_mov_b32_e32 v5, s15
	s_addc_u32 s7, s7, 0
	v_cmp_ge_u64_e32 vcc, s[22:23], v[4:5]
	s_add_u32 s20, s20, 8
	v_add3_u32 v2, v8, v2, v6
	s_addc_u32 s21, s21, 0
	s_cbranch_vccnz .LBB0_9
; %bb.7:                                ;   in Loop: Header=BB0_2 Depth=1
	v_mov_b32_e32 v5, v50
	v_mov_b32_e32 v6, v51
	s_branch .LBB0_2
.LBB0_8:
	v_mov_b32_e32 v49, v2
	v_mov_b32_e32 v51, v6
	;; [unrolled: 1-line block ×4, first 2 shown]
.LBB0_9:
	s_load_dwordx2 s[2:3], s[4:5], 0x28
	s_lshl_b64 s[6:7], s[14:15], 3
	s_add_u32 s14, s18, s6
	v_and_b32_e32 v3, 1, v7
	s_addc_u32 s15, s19, s7
	s_waitcnt lgkmcnt(0)
	v_cmp_gt_u64_e64 s[0:1], s[2:3], v[50:51]
	v_cmp_le_u64_e64 s[2:3], s[2:3], v[50:51]
	v_cmp_eq_u32_e32 vcc, 1, v3
	v_mov_b32_e32 v3, 0x2d7
                                        ; implicit-def: $vgpr52
	s_and_saveexec_b64 s[4:5], s[2:3]
	s_xor_b64 s[2:3], exec, s[4:5]
; %bb.10:
	s_mov_b32 s4, 0x3e0f83f
	v_mul_hi_u32 v1, v0, s4
	v_mul_u32_u24_e32 v1, 0x42, v1
	v_sub_u32_e32 v52, v0, v1
                                        ; implicit-def: $vgpr0
                                        ; implicit-def: $vgpr1_vgpr2
; %bb.11:
	s_or_saveexec_b64 s[4:5], s[2:3]
	s_load_dwordx2 s[2:3], s[14:15], 0x0
	v_cndmask_b32_e32 v3, 0, v3, vcc
	v_lshlrev_b32_e32 v56, 4, v3
	s_xor_b64 exec, exec, s[4:5]
	s_cbranch_execz .LBB0_15
; %bb.12:
	s_add_u32 s6, s16, s6
	s_addc_u32 s7, s17, s7
	s_load_dwordx2 s[6:7], s[6:7], 0x0
	s_mov_b32 s14, 0x3e0f83f
	v_mul_hi_u32 v6, v0, s14
	v_lshlrev_b64 v[1:2], 4, v[1:2]
	s_waitcnt lgkmcnt(0)
	v_mul_lo_u32 v7, s7, v50
	v_mul_lo_u32 v8, s6, v51
	v_mad_u64_u32 v[4:5], s[6:7], s6, v50, 0
	v_mul_u32_u24_e32 v6, 0x42, v6
	v_sub_u32_e32 v52, v0, v6
	v_add3_u32 v5, v5, v8, v7
	v_lshlrev_b64 v[4:5], 4, v[4:5]
	v_mov_b32_e32 v0, s9
	v_add_co_u32_e32 v4, vcc, s8, v4
	v_addc_co_u32_e32 v0, vcc, v0, v5, vcc
	v_add_co_u32_e32 v1, vcc, v4, v1
	v_addc_co_u32_e32 v0, vcc, v0, v2, vcc
	v_lshlrev_b32_e32 v2, 4, v52
	v_add_co_u32_e32 v36, vcc, v1, v2
	v_addc_co_u32_e32 v37, vcc, 0, v0, vcc
	s_movk_i32 s6, 0x1000
	v_add_co_u32_e32 v38, vcc, s6, v36
	v_addc_co_u32_e32 v39, vcc, 0, v37, vcc
	v_add_co_u32_e32 v53, vcc, 0x2000, v36
	v_addc_co_u32_e32 v54, vcc, 0, v37, vcc
	global_load_dwordx4 v[4:7], v[36:37], off
	global_load_dwordx4 v[8:11], v[36:37], off offset:1056
	global_load_dwordx4 v[12:15], v[36:37], off offset:2112
	;; [unrolled: 1-line block ×7, first 2 shown]
	s_nop 0
	global_load_dwordx4 v[36:39], v[53:54], off offset:256
	global_load_dwordx4 v[40:43], v[53:54], off offset:1312
	;; [unrolled: 1-line block ×3, first 2 shown]
	s_movk_i32 s6, 0x41
	v_add3_u32 v2, 0, v56, v2
	v_cmp_eq_u32_e32 vcc, s6, v52
	s_waitcnt vmcnt(10)
	ds_write_b128 v2, v[4:7]
	s_waitcnt vmcnt(9)
	ds_write_b128 v2, v[8:11] offset:1056
	s_waitcnt vmcnt(8)
	ds_write_b128 v2, v[12:15] offset:2112
	;; [unrolled: 2-line block ×10, first 2 shown]
	s_and_saveexec_b64 s[6:7], vcc
	s_cbranch_execz .LBB0_14
; %bb.13:
	v_add_co_u32_e32 v4, vcc, 0x2000, v1
	v_addc_co_u32_e32 v5, vcc, 0, v0, vcc
	global_load_dwordx4 v[4:7], v[4:5], off offset:3424
	v_mov_b32_e32 v52, 0x41
	s_waitcnt vmcnt(0)
	ds_write_b128 v2, v[4:7] offset:10576
.LBB0_14:
	s_or_b64 exec, exec, s[6:7]
.LBB0_15:
	s_or_b64 exec, exec, s[4:5]
	v_lshl_add_u32 v54, v3, 4, 0
	v_lshlrev_b32_e32 v10, 4, v52
	v_add_u32_e32 v55, v54, v10
	s_waitcnt lgkmcnt(0)
	s_barrier
	v_sub_u32_e32 v11, v54, v10
	ds_read_b64 v[6:7], v55
	ds_read_b64 v[8:9], v11 offset:11616
	s_add_u32 s6, s12, 0x2cb0
	s_addc_u32 s7, s13, 0
	v_cmp_ne_u32_e32 vcc, 0, v52
                                        ; implicit-def: $vgpr4_vgpr5
	s_waitcnt lgkmcnt(0)
	v_add_f64 v[0:1], v[6:7], v[8:9]
	v_add_f64 v[2:3], v[6:7], -v[8:9]
	s_and_saveexec_b64 s[4:5], vcc
	s_xor_b64 s[4:5], exec, s[4:5]
	s_cbranch_execz .LBB0_17
; %bb.16:
	v_mov_b32_e32 v53, 0
	v_lshlrev_b64 v[0:1], 4, v[52:53]
	v_mov_b32_e32 v2, s7
	v_add_co_u32_e32 v0, vcc, s6, v0
	v_addc_co_u32_e32 v1, vcc, v2, v1, vcc
	global_load_dwordx4 v[2:5], v[0:1], off
	ds_read_b64 v[0:1], v11 offset:11624
	ds_read_b64 v[12:13], v55 offset:8
	v_add_f64 v[14:15], v[6:7], v[8:9]
	v_add_f64 v[8:9], v[6:7], -v[8:9]
	s_waitcnt lgkmcnt(0)
	v_add_f64 v[16:17], v[0:1], v[12:13]
	v_add_f64 v[0:1], v[12:13], -v[0:1]
	s_waitcnt vmcnt(0)
	v_fma_f64 v[6:7], -v[8:9], v[4:5], v[14:15]
	v_fma_f64 v[12:13], v[16:17], v[4:5], -v[0:1]
	v_fma_f64 v[14:15], v[8:9], v[4:5], v[14:15]
	v_fma_f64 v[18:19], v[16:17], v[4:5], v[0:1]
	;; [unrolled: 1-line block ×4, first 2 shown]
	v_fma_f64 v[0:1], -v[16:17], v[2:3], v[14:15]
	v_fma_f64 v[2:3], v[8:9], v[2:3], v[18:19]
	ds_write_b128 v11, v[4:7] offset:11616
	v_mov_b32_e32 v4, v52
	v_mov_b32_e32 v5, v53
.LBB0_17:
	s_andn2_saveexec_b64 s[4:5], s[4:5]
	s_cbranch_execz .LBB0_19
; %bb.18:
	ds_read_b128 v[4:7], v54 offset:5808
	s_waitcnt lgkmcnt(0)
	v_add_f64 v[12:13], v[4:5], v[4:5]
	v_mul_f64 v[14:15], v[6:7], -2.0
	v_mov_b32_e32 v4, 0
	v_mov_b32_e32 v5, 0
	ds_write_b128 v54, v[12:15] offset:5808
.LBB0_19:
	s_or_b64 exec, exec, s[4:5]
	v_lshlrev_b64 v[4:5], 4, v[4:5]
	v_mov_b32_e32 v6, s7
	v_add_co_u32_e32 v24, vcc, s6, v4
	v_addc_co_u32_e32 v25, vcc, v6, v5, vcc
	global_load_dwordx4 v[4:7], v[24:25], off offset:1056
	global_load_dwordx4 v[12:15], v[24:25], off offset:2112
	ds_write_b128 v55, v[0:3]
	ds_read_b128 v[0:3], v55 offset:1056
	ds_read_b128 v[16:19], v11 offset:10560
	global_load_dwordx4 v[20:23], v[24:25], off offset:3168
	s_movk_i32 s4, 0x1000
	s_waitcnt lgkmcnt(0)
	v_add_f64 v[8:9], v[0:1], v[16:17]
	v_add_f64 v[26:27], v[18:19], v[2:3]
	v_add_f64 v[16:17], v[0:1], -v[16:17]
	v_add_f64 v[0:1], v[2:3], -v[18:19]
	s_waitcnt vmcnt(2)
	v_fma_f64 v[2:3], v[16:17], v[6:7], v[8:9]
	v_fma_f64 v[18:19], v[26:27], v[6:7], v[0:1]
	v_fma_f64 v[8:9], -v[16:17], v[6:7], v[8:9]
	v_fma_f64 v[28:29], v[26:27], v[6:7], -v[0:1]
	v_fma_f64 v[0:1], -v[26:27], v[4:5], v[2:3]
	v_fma_f64 v[2:3], v[16:17], v[4:5], v[18:19]
	v_fma_f64 v[6:7], v[26:27], v[4:5], v[8:9]
	;; [unrolled: 1-line block ×3, first 2 shown]
	ds_write_b128 v55, v[0:3] offset:1056
	ds_write_b128 v11, v[6:9] offset:10560
	v_add_co_u32_e32 v0, vcc, s4, v24
	v_addc_co_u32_e32 v1, vcc, 0, v25, vcc
	ds_read_b128 v[2:5], v55 offset:2112
	ds_read_b128 v[6:9], v11 offset:9504
	global_load_dwordx4 v[16:19], v[0:1], off offset:128
	v_cmp_gt_u32_e32 vcc, 33, v52
	s_waitcnt lgkmcnt(0)
	v_add_f64 v[24:25], v[2:3], v[6:7]
	v_add_f64 v[26:27], v[8:9], v[4:5]
	v_add_f64 v[28:29], v[2:3], -v[6:7]
	v_add_f64 v[2:3], v[4:5], -v[8:9]
	s_waitcnt vmcnt(2)
	v_fma_f64 v[4:5], v[28:29], v[14:15], v[24:25]
	v_fma_f64 v[6:7], v[26:27], v[14:15], v[2:3]
	v_fma_f64 v[8:9], -v[28:29], v[14:15], v[24:25]
	v_fma_f64 v[14:15], v[26:27], v[14:15], -v[2:3]
	v_fma_f64 v[2:3], -v[26:27], v[12:13], v[4:5]
	v_fma_f64 v[4:5], v[28:29], v[12:13], v[6:7]
	v_fma_f64 v[6:7], v[26:27], v[12:13], v[8:9]
	;; [unrolled: 1-line block ×3, first 2 shown]
	ds_write_b128 v55, v[2:5] offset:2112
	ds_write_b128 v11, v[6:9] offset:9504
	ds_read_b128 v[2:5], v55 offset:3168
	ds_read_b128 v[6:9], v11 offset:8448
	s_waitcnt lgkmcnt(0)
	v_add_f64 v[12:13], v[2:3], v[6:7]
	v_add_f64 v[14:15], v[8:9], v[4:5]
	v_add_f64 v[24:25], v[2:3], -v[6:7]
	v_add_f64 v[2:3], v[4:5], -v[8:9]
	s_waitcnt vmcnt(1)
	v_fma_f64 v[4:5], v[24:25], v[22:23], v[12:13]
	v_fma_f64 v[6:7], v[14:15], v[22:23], v[2:3]
	v_fma_f64 v[8:9], -v[24:25], v[22:23], v[12:13]
	v_fma_f64 v[12:13], v[14:15], v[22:23], -v[2:3]
	v_fma_f64 v[2:3], -v[14:15], v[20:21], v[4:5]
	v_fma_f64 v[4:5], v[24:25], v[20:21], v[6:7]
	v_fma_f64 v[6:7], v[14:15], v[20:21], v[8:9]
	;; [unrolled: 1-line block ×3, first 2 shown]
	ds_write_b128 v55, v[2:5] offset:3168
	ds_write_b128 v11, v[6:9] offset:8448
	ds_read_b128 v[2:5], v55 offset:4224
	ds_read_b128 v[6:9], v11 offset:7392
	s_waitcnt lgkmcnt(0)
	v_add_f64 v[12:13], v[2:3], v[6:7]
	v_add_f64 v[14:15], v[8:9], v[4:5]
	v_add_f64 v[20:21], v[2:3], -v[6:7]
	v_add_f64 v[2:3], v[4:5], -v[8:9]
	s_waitcnt vmcnt(0)
	v_fma_f64 v[4:5], v[20:21], v[18:19], v[12:13]
	v_fma_f64 v[6:7], v[14:15], v[18:19], v[2:3]
	v_fma_f64 v[8:9], -v[20:21], v[18:19], v[12:13]
	v_fma_f64 v[12:13], v[14:15], v[18:19], -v[2:3]
	v_fma_f64 v[2:3], -v[14:15], v[16:17], v[4:5]
	v_fma_f64 v[4:5], v[20:21], v[16:17], v[6:7]
	v_fma_f64 v[6:7], v[14:15], v[16:17], v[8:9]
	;; [unrolled: 1-line block ×3, first 2 shown]
	ds_write_b128 v55, v[2:5] offset:4224
	ds_write_b128 v11, v[6:9] offset:7392
	s_and_saveexec_b64 s[4:5], vcc
	s_cbranch_execz .LBB0_21
; %bb.20:
	global_load_dwordx4 v[0:3], v[0:1], off offset:1184
	ds_read_b128 v[4:7], v55 offset:5280
	ds_read_b128 v[12:15], v11 offset:6336
	s_waitcnt lgkmcnt(0)
	v_add_f64 v[8:9], v[4:5], v[12:13]
	v_add_f64 v[16:17], v[14:15], v[6:7]
	v_add_f64 v[12:13], v[4:5], -v[12:13]
	v_add_f64 v[4:5], v[6:7], -v[14:15]
	s_waitcnt vmcnt(0)
	v_fma_f64 v[6:7], v[12:13], v[2:3], v[8:9]
	v_fma_f64 v[14:15], v[16:17], v[2:3], v[4:5]
	v_fma_f64 v[8:9], -v[12:13], v[2:3], v[8:9]
	v_fma_f64 v[18:19], v[16:17], v[2:3], -v[4:5]
	v_fma_f64 v[2:3], -v[16:17], v[0:1], v[6:7]
	v_fma_f64 v[4:5], v[12:13], v[0:1], v[14:15]
	v_fma_f64 v[6:7], v[16:17], v[0:1], v[8:9]
	;; [unrolled: 1-line block ×3, first 2 shown]
	ds_write_b128 v55, v[2:5] offset:5280
	ds_write_b128 v11, v[6:9] offset:6336
.LBB0_21:
	s_or_b64 exec, exec, s[4:5]
	s_waitcnt lgkmcnt(0)
	s_barrier
	s_barrier
	v_add3_u32 v53, 0, v10, v56
	ds_read_b128 v[0:3], v55
	ds_read_b128 v[4:7], v53 offset:1056
	ds_read_b128 v[8:11], v53 offset:2112
	ds_read_b128 v[12:15], v53 offset:3168
	s_mov_b32 s20, 0xf8bb580b
	s_mov_b32 s6, 0x8eee2c13
	s_mov_b32 s4, 0x43842ef
	s_waitcnt lgkmcnt(2)
	v_add_f64 v[16:17], v[0:1], v[4:5]
	v_add_f64 v[18:19], v[2:3], v[6:7]
	s_mov_b32 s16, 0xbb3a28a1
	s_mov_b32 s34, 0xfd768dbf
	;; [unrolled: 1-line block ×6, first 2 shown]
	s_waitcnt lgkmcnt(1)
	v_add_f64 v[16:17], v[16:17], v[8:9]
	v_add_f64 v[18:19], v[18:19], v[10:11]
	ds_read_b128 v[20:23], v53 offset:5280
	s_mov_b32 s35, 0xbfd207e7
	s_mov_b32 s18, 0x8764f0ba
	;; [unrolled: 1-line block ×5, first 2 shown]
	s_waitcnt lgkmcnt(1)
	v_add_f64 v[24:25], v[16:17], v[12:13]
	v_add_f64 v[26:27], v[18:19], v[14:15]
	ds_read_b128 v[16:19], v53 offset:4224
	s_mov_b32 s36, 0x9bcd5057
	s_mov_b32 s19, 0x3feaeb8c
	;; [unrolled: 1-line block ×5, first 2 shown]
	s_waitcnt lgkmcnt(0)
	v_add_f64 v[32:33], v[24:25], v[16:17]
	v_add_f64 v[34:35], v[26:27], v[18:19]
	ds_read_b128 v[24:27], v53 offset:6336
	ds_read_b128 v[28:31], v53 offset:7392
	s_mov_b32 s37, 0xbfeeb42a
	s_mov_b32 s29, 0x3fe14ced
	;; [unrolled: 1-line block ×3, first 2 shown]
	s_waitcnt lgkmcnt(1)
	v_add_f64 v[57:58], v[20:21], v[24:25]
	v_add_f64 v[61:62], v[20:21], -v[24:25]
	v_add_f64 v[44:45], v[32:33], v[20:21]
	v_add_f64 v[46:47], v[34:35], v[22:23]
	;; [unrolled: 1-line block ×3, first 2 shown]
	ds_read_b128 v[32:35], v53 offset:8448
	ds_read_b128 v[36:39], v53 offset:9504
	;; [unrolled: 1-line block ×3, first 2 shown]
	s_waitcnt lgkmcnt(3)
	v_add_f64 v[63:64], v[18:19], v[30:31]
	v_add_f64 v[18:19], v[18:19], -v[30:31]
	s_waitcnt lgkmcnt(2)
	v_add_f64 v[67:68], v[14:15], v[34:35]
	v_add_f64 v[14:15], v[14:15], -v[34:35]
	v_add_f64 v[20:21], v[44:45], v[24:25]
	v_add_f64 v[24:25], v[46:47], v[26:27]
	v_add_f64 v[44:45], v[22:23], -v[26:27]
	v_add_f64 v[46:47], v[16:17], v[28:29]
	v_add_f64 v[16:17], v[16:17], -v[28:29]
	s_waitcnt lgkmcnt(1)
	v_add_f64 v[69:70], v[8:9], v[36:37]
	v_add_f64 v[71:72], v[10:11], v[38:39]
	v_add_f64 v[73:74], v[8:9], -v[36:37]
	v_add_f64 v[20:21], v[20:21], v[28:29]
	v_add_f64 v[22:23], v[24:25], v[30:31]
	s_waitcnt lgkmcnt(0)
	v_add_f64 v[24:25], v[6:7], -v[42:43]
	v_add_f64 v[8:9], v[4:5], v[40:41]
	v_add_f64 v[75:76], v[10:11], -v[38:39]
	v_add_f64 v[6:7], v[6:7], v[42:43]
	v_add_f64 v[65:66], v[12:13], v[32:33]
	v_add_f64 v[12:13], v[12:13], -v[32:33]
	v_add_f64 v[20:21], v[20:21], v[32:33]
	v_add_f64 v[22:23], v[22:23], v[34:35]
	v_mul_f64 v[26:27], v[24:25], s[20:21]
	v_mul_f64 v[10:11], v[24:25], s[6:7]
	v_mul_f64 v[28:29], v[24:25], s[4:5]
	v_mul_f64 v[34:35], v[24:25], s[16:17]
	v_mul_f64 v[24:25], v[24:25], s[34:35]
	v_add_f64 v[4:5], v[4:5], -v[40:41]
	v_add_f64 v[20:21], v[20:21], v[36:37]
	v_add_f64 v[22:23], v[22:23], v[38:39]
	v_fma_f64 v[30:31], v[8:9], s[18:19], v[26:27]
	v_fma_f64 v[26:27], v[8:9], s[18:19], -v[26:27]
	v_fma_f64 v[32:33], v[8:9], s[14:15], v[10:11]
	v_fma_f64 v[10:11], v[8:9], s[14:15], -v[10:11]
	;; [unrolled: 2-line block ×3, first 2 shown]
	v_add_f64 v[20:21], v[20:21], v[40:41]
	v_add_f64 v[22:23], v[22:23], v[42:43]
	v_fma_f64 v[38:39], v[8:9], s[22:23], v[34:35]
	v_mul_f64 v[40:41], v[6:7], s[18:19]
	v_fma_f64 v[34:35], v[8:9], s[22:23], -v[34:35]
	v_fma_f64 v[42:43], v[8:9], s[36:37], v[24:25]
	v_fma_f64 v[8:9], v[8:9], s[36:37], -v[24:25]
	v_mul_f64 v[24:25], v[6:7], s[14:15]
	s_mov_b32 s25, 0x3fed1bb4
	s_mov_b32 s24, s6
	v_mul_f64 v[79:80], v[6:7], s[8:9]
	v_fma_f64 v[77:78], v[4:5], s[28:29], v[40:41]
	v_mul_f64 v[83:84], v[6:7], s[22:23]
	v_mul_f64 v[6:7], v[6:7], s[36:37]
	s_mov_b32 s27, 0x3fefac9e
	v_fma_f64 v[81:82], v[4:5], s[24:25], v[24:25]
	v_fma_f64 v[24:25], v[4:5], s[6:7], v[24:25]
	s_mov_b32 s26, s4
	s_mov_b32 s31, 0x3fe82f19
	;; [unrolled: 1-line block ×5, first 2 shown]
	v_fma_f64 v[40:41], v[4:5], s[20:21], v[40:41]
	v_fma_f64 v[85:86], v[4:5], s[26:27], v[79:80]
	;; [unrolled: 1-line block ×7, first 2 shown]
	v_add_f64 v[6:7], v[0:1], v[30:31]
	v_add_f64 v[30:31], v[2:3], v[77:78]
	;; [unrolled: 1-line block ×4, first 2 shown]
	v_mul_f64 v[24:25], v[75:76], s[6:7]
	v_mul_f64 v[91:92], v[71:72], s[14:15]
	v_add_f64 v[93:94], v[0:1], v[28:29]
	v_mul_f64 v[97:98], v[14:15], s[4:5]
	v_mul_f64 v[99:100], v[67:68], s[8:9]
	v_add_f64 v[101:102], v[0:1], v[34:35]
	v_mul_f64 v[103:104], v[63:64], s[22:23]
	v_add_f64 v[26:27], v[0:1], v[26:27]
	v_fma_f64 v[28:29], v[69:70], s[14:15], v[24:25]
	v_fma_f64 v[95:96], v[73:74], s[24:25], v[91:92]
	v_add_f64 v[40:41], v[2:3], v[40:41]
	v_add_f64 v[32:33], v[0:1], v[32:33]
	v_fma_f64 v[34:35], v[12:13], s[26:27], v[99:100]
	v_add_f64 v[10:11], v[0:1], v[10:11]
	v_add_f64 v[36:37], v[0:1], v[36:37]
	;; [unrolled: 1-line block ×5, first 2 shown]
	v_fma_f64 v[30:31], v[65:66], s[8:9], v[97:98]
	v_mul_f64 v[95:96], v[18:19], s[16:17]
	v_add_f64 v[79:80], v[2:3], v[79:80]
	v_add_f64 v[38:39], v[0:1], v[38:39]
	;; [unrolled: 1-line block ×8, first 2 shown]
	v_fma_f64 v[0:1], v[69:70], s[14:15], -v[24:25]
	v_fma_f64 v[2:3], v[73:74], s[6:7], v[91:92]
	v_add_f64 v[4:5], v[30:31], v[6:7]
	v_add_f64 v[6:7], v[34:35], v[28:29]
	v_fma_f64 v[8:9], v[46:47], s[22:23], v[95:96]
	v_fma_f64 v[24:25], v[16:17], s[30:31], v[103:104]
	v_mul_f64 v[28:29], v[44:45], s[34:35]
	v_mul_f64 v[30:31], v[59:60], s[36:37]
	v_add_f64 v[0:1], v[0:1], v[26:27]
	v_add_f64 v[2:3], v[2:3], v[40:41]
	v_fma_f64 v[26:27], v[65:66], s[8:9], -v[97:98]
	v_fma_f64 v[34:35], v[12:13], s[4:5], v[99:100]
	v_add_f64 v[4:5], v[8:9], v[4:5]
	v_add_f64 v[6:7], v[24:25], v[6:7]
	v_fma_f64 v[8:9], v[57:58], s[36:37], v[28:29]
	v_fma_f64 v[40:41], v[61:62], s[38:39], v[30:31]
	v_mul_f64 v[91:92], v[75:76], s[16:17]
	v_mul_f64 v[97:98], v[71:72], s[22:23]
	v_add_f64 v[0:1], v[26:27], v[0:1]
	v_add_f64 v[2:3], v[34:35], v[2:3]
	v_fma_f64 v[34:35], v[46:47], s[22:23], -v[95:96]
	v_fma_f64 v[95:96], v[16:17], s[16:17], v[103:104]
	v_add_f64 v[24:25], v[8:9], v[4:5]
	v_add_f64 v[26:27], v[40:41], v[6:7]
	v_fma_f64 v[4:5], v[69:70], s[22:23], v[91:92]
	v_fma_f64 v[6:7], v[73:74], s[30:31], v[97:98]
	v_mul_f64 v[8:9], v[14:15], s[38:39]
	v_mul_f64 v[40:41], v[67:68], s[36:37]
	v_add_f64 v[0:1], v[34:35], v[0:1]
	v_fma_f64 v[28:29], v[57:58], s[36:37], -v[28:29]
	v_add_f64 v[2:3], v[95:96], v[2:3]
	v_fma_f64 v[30:31], v[61:62], s[34:35], v[30:31]
	v_add_f64 v[4:5], v[4:5], v[32:33]
	v_add_f64 v[6:7], v[6:7], v[77:78]
	v_fma_f64 v[32:33], v[65:66], s[36:37], v[8:9]
	v_mul_f64 v[77:78], v[18:19], s[26:27]
	v_fma_f64 v[34:35], v[12:13], s[34:35], v[40:41]
	v_mul_f64 v[95:96], v[63:64], s[8:9]
	v_add_f64 v[0:1], v[28:29], v[0:1]
	v_fma_f64 v[28:29], v[69:70], s[22:23], -v[91:92]
	v_add_f64 v[2:3], v[30:31], v[2:3]
	v_fma_f64 v[30:31], v[73:74], s[16:17], v[97:98]
	v_add_f64 v[4:5], v[32:33], v[4:5]
	v_fma_f64 v[32:33], v[46:47], s[8:9], v[77:78]
	;; [unrolled: 2-line block ×3, first 2 shown]
	v_mul_f64 v[91:92], v[44:45], s[28:29]
	v_add_f64 v[10:11], v[28:29], v[10:11]
	v_fma_f64 v[8:9], v[65:66], s[36:37], -v[8:9]
	v_mul_f64 v[97:98], v[59:60], s[18:19]
	v_add_f64 v[28:29], v[30:31], v[81:82]
	v_add_f64 v[4:5], v[32:33], v[4:5]
	v_mul_f64 v[32:33], v[75:76], s[38:39]
	v_fma_f64 v[30:31], v[12:13], s[38:39], v[40:41]
	v_add_f64 v[6:7], v[34:35], v[6:7]
	v_mul_f64 v[34:35], v[71:72], s[36:37]
	v_fma_f64 v[40:41], v[57:58], s[18:19], v[91:92]
	v_add_f64 v[8:9], v[8:9], v[10:11]
	v_fma_f64 v[77:78], v[46:47], s[8:9], -v[77:78]
	v_mul_f64 v[109:110], v[14:15], s[24:25]
	v_fma_f64 v[99:100], v[69:70], s[36:37], v[32:33]
	v_fma_f64 v[81:82], v[61:62], s[20:21], v[97:98]
	v_add_f64 v[10:11], v[30:31], v[28:29]
	v_fma_f64 v[95:96], v[16:17], s[26:27], v[95:96]
	v_fma_f64 v[103:104], v[73:74], s[34:35], v[34:35]
	v_mul_f64 v[111:112], v[67:68], s[14:15]
	v_add_f64 v[28:29], v[40:41], v[4:5]
	v_add_f64 v[4:5], v[77:78], v[8:9]
	;; [unrolled: 1-line block ×3, first 2 shown]
	v_fma_f64 v[36:37], v[65:66], s[14:15], v[109:110]
	v_mul_f64 v[77:78], v[18:19], s[20:21]
	v_add_f64 v[30:31], v[81:82], v[6:7]
	v_add_f64 v[6:7], v[95:96], v[10:11]
	;; [unrolled: 1-line block ×3, first 2 shown]
	v_fma_f64 v[40:41], v[12:13], s[6:7], v[111:112]
	v_mul_f64 v[81:82], v[63:64], s[18:19]
	v_fma_f64 v[32:33], v[69:70], s[36:37], -v[32:33]
	v_fma_f64 v[34:35], v[73:74], s[38:39], v[34:35]
	v_add_f64 v[8:9], v[36:37], v[8:9]
	v_fma_f64 v[36:37], v[46:47], s[18:19], v[77:78]
	v_fma_f64 v[85:86], v[57:58], s[18:19], -v[91:92]
	v_fma_f64 v[91:92], v[61:62], s[28:29], v[97:98]
	v_add_f64 v[10:11], v[40:41], v[10:11]
	v_fma_f64 v[40:41], v[16:17], s[28:29], v[81:82]
	v_mul_f64 v[95:96], v[44:45], s[16:17]
	v_mul_f64 v[97:98], v[59:60], s[22:23]
	v_add_f64 v[32:33], v[32:33], v[93:94]
	v_add_f64 v[34:35], v[34:35], v[79:80]
	v_fma_f64 v[79:80], v[65:66], s[14:15], -v[109:110]
	v_fma_f64 v[93:94], v[12:13], s[24:25], v[111:112]
	v_add_f64 v[8:9], v[36:37], v[8:9]
	v_mul_f64 v[36:37], v[75:76], s[26:27]
	v_add_f64 v[4:5], v[85:86], v[4:5]
	v_add_f64 v[10:11], v[40:41], v[10:11]
	v_fma_f64 v[40:41], v[57:58], s[22:23], v[95:96]
	v_fma_f64 v[85:86], v[61:62], s[30:31], v[97:98]
	v_add_f64 v[79:80], v[79:80], v[32:33]
	v_add_f64 v[93:94], v[93:94], v[34:35]
	v_fma_f64 v[77:78], v[46:47], s[18:19], -v[77:78]
	v_fma_f64 v[81:82], v[16:17], s[20:21], v[81:82]
	v_add_f64 v[6:7], v[91:92], v[6:7]
	v_fma_f64 v[91:92], v[69:70], s[8:9], v[36:37]
	v_mul_f64 v[99:100], v[71:72], s[8:9]
	v_mul_f64 v[103:104], v[14:15], s[20:21]
	v_add_f64 v[32:33], v[40:41], v[8:9]
	v_add_f64 v[34:35], v[85:86], v[10:11]
	;; [unrolled: 1-line block ×4, first 2 shown]
	v_fma_f64 v[40:41], v[57:58], s[22:23], -v[95:96]
	v_add_f64 v[38:39], v[91:92], v[38:39]
	v_fma_f64 v[77:78], v[73:74], s[4:5], v[99:100]
	v_fma_f64 v[79:80], v[65:66], s[18:19], v[103:104]
	v_mul_f64 v[81:82], v[67:68], s[18:19]
	v_fma_f64 v[36:37], v[69:70], s[8:9], -v[36:37]
	v_fma_f64 v[93:94], v[73:74], s[26:27], v[99:100]
	v_mul_f64 v[91:92], v[18:19], s[34:35]
	v_add_f64 v[8:9], v[40:41], v[8:9]
	v_mul_f64 v[75:76], v[75:76], s[28:29]
	v_add_f64 v[40:41], v[77:78], v[87:88]
	v_add_f64 v[38:39], v[79:80], v[38:39]
	v_fma_f64 v[77:78], v[12:13], s[28:29], v[81:82]
	v_mul_f64 v[79:80], v[63:64], s[36:37]
	v_add_f64 v[36:37], v[36:37], v[101:102]
	v_add_f64 v[83:84], v[93:94], v[83:84]
	v_fma_f64 v[93:94], v[65:66], s[18:19], -v[103:104]
	v_fma_f64 v[81:82], v[12:13], s[20:21], v[81:82]
	v_fma_f64 v[85:86], v[61:62], s[16:17], v[97:98]
	v_mul_f64 v[71:72], v[71:72], s[18:19]
	v_add_f64 v[40:41], v[77:78], v[40:41]
	v_fma_f64 v[77:78], v[16:17], s[38:39], v[79:80]
	v_mul_f64 v[14:15], v[14:15], s[16:17]
	v_mul_f64 v[67:68], v[67:68], s[22:23]
	v_add_f64 v[36:37], v[93:94], v[36:37]
	v_add_f64 v[81:82], v[81:82], v[83:84]
	v_fma_f64 v[83:84], v[46:47], s[36:37], -v[91:92]
	v_add_f64 v[10:11], v[85:86], v[10:11]
	v_fma_f64 v[85:86], v[73:74], s[20:21], v[71:72]
	v_add_f64 v[40:41], v[77:78], v[40:41]
	v_fma_f64 v[77:78], v[69:70], s[18:19], v[75:76]
	v_fma_f64 v[69:70], v[69:70], s[18:19], -v[75:76]
	v_fma_f64 v[79:80], v[16:17], s[34:35], v[79:80]
	v_mul_f64 v[18:19], v[18:19], s[24:25]
	v_add_f64 v[75:76], v[83:84], v[36:37]
	v_fma_f64 v[36:37], v[73:74], s[28:29], v[71:72]
	v_fma_f64 v[73:74], v[65:66], s[22:23], v[14:15]
	v_fma_f64 v[14:15], v[65:66], s[22:23], -v[14:15]
	v_add_f64 v[42:43], v[77:78], v[42:43]
	v_add_f64 v[69:70], v[69:70], v[105:106]
	;; [unrolled: 1-line block ×3, first 2 shown]
	v_fma_f64 v[77:78], v[12:13], s[30:31], v[67:68]
	v_fma_f64 v[12:13], v[12:13], s[16:17], v[67:68]
	v_add_f64 v[36:37], v[36:37], v[107:108]
	v_mul_f64 v[63:64], v[63:64], s[14:15]
	v_fma_f64 v[87:88], v[46:47], s[36:37], v[91:92]
	v_add_f64 v[79:80], v[79:80], v[81:82]
	v_mul_f64 v[81:82], v[44:45], s[24:25]
	v_add_f64 v[14:15], v[14:15], v[69:70]
	v_mul_f64 v[69:70], v[59:60], s[14:15]
	v_add_f64 v[42:43], v[73:74], v[42:43]
	v_add_f64 v[65:66], v[77:78], v[71:72]
	;; [unrolled: 1-line block ×3, first 2 shown]
	v_fma_f64 v[36:37], v[46:47], s[14:15], v[18:19]
	v_fma_f64 v[18:19], v[46:47], s[14:15], -v[18:19]
	v_fma_f64 v[46:47], v[16:17], s[6:7], v[63:64]
	v_mul_f64 v[44:45], v[44:45], s[4:5]
	v_mul_f64 v[59:60], v[59:60], s[8:9]
	v_fma_f64 v[16:17], v[16:17], s[24:25], v[63:64]
	v_add_f64 v[38:39], v[87:88], v[38:39]
	v_fma_f64 v[67:68], v[57:58], s[14:15], v[81:82]
	v_fma_f64 v[63:64], v[61:62], s[6:7], v[69:70]
	v_add_f64 v[42:43], v[36:37], v[42:43]
	v_add_f64 v[46:47], v[46:47], v[65:66]
	v_fma_f64 v[65:66], v[57:58], s[8:9], v[44:45]
	v_fma_f64 v[73:74], v[61:62], s[26:27], v[59:60]
	v_add_f64 v[14:15], v[18:19], v[14:15]
	v_add_f64 v[77:78], v[16:17], v[12:13]
	v_fma_f64 v[12:13], v[57:58], s[8:9], -v[44:45]
	v_fma_f64 v[44:45], v[61:62], s[4:5], v[59:60]
	v_fma_f64 v[71:72], v[57:58], s[14:15], -v[81:82]
	v_fma_f64 v[69:70], v[61:62], s[24:25], v[69:70]
	v_add_f64 v[36:37], v[67:68], v[38:39]
	v_add_f64 v[38:39], v[63:64], v[40:41]
	;; [unrolled: 1-line block ×6, first 2 shown]
	s_movk_i32 s4, 0xa0
	v_add_f64 v[16:17], v[71:72], v[75:76]
	v_add_f64 v[18:19], v[69:70], v[79:80]
	v_mad_u32_u24 v44, v52, s4, v53
	s_barrier
	ds_write_b128 v44, v[20:23]
	ds_write_b128 v44, v[24:27] offset:16
	ds_write_b128 v44, v[28:31] offset:32
	;; [unrolled: 1-line block ×10, first 2 shown]
	s_waitcnt lgkmcnt(0)
	s_barrier
	ds_read_b128 v[24:27], v55
	ds_read_b128 v[28:31], v53 offset:1936
	ds_read_b128 v[40:43], v53 offset:3872
	;; [unrolled: 1-line block ×5, first 2 shown]
	v_cmp_gt_u32_e32 vcc, 55, v52
                                        ; implicit-def: $vgpr22_vgpr23
	s_and_saveexec_b64 s[4:5], vcc
	s_cbranch_execz .LBB0_23
; %bb.22:
	ds_read_b128 v[12:15], v53 offset:1056
	ds_read_b128 v[16:19], v53 offset:2992
	;; [unrolled: 1-line block ×6, first 2 shown]
.LBB0_23:
	s_or_b64 exec, exec, s[4:5]
	s_movk_i32 s14, 0x75
	v_mul_lo_u16_sdwa v57, v52, s14 dst_sel:DWORD dst_unused:UNUSED_PAD src0_sel:BYTE_0 src1_sel:DWORD
	v_sub_u16_sdwa v58, v52, v57 dst_sel:DWORD dst_unused:UNUSED_PAD src0_sel:DWORD src1_sel:BYTE_1
	v_lshrrev_b16_e32 v58, 1, v58
	v_and_b32_e32 v58, 0x7f, v58
	v_add_u16_sdwa v57, v58, v57 dst_sel:DWORD dst_unused:UNUSED_PAD src0_sel:DWORD src1_sel:BYTE_1
	v_lshrrev_b16_e32 v79, 3, v57
	v_mul_lo_u16_e32 v57, 11, v79
	v_sub_u16_e32 v80, v52, v57
	v_mov_b32_e32 v58, 5
	v_mul_u32_u24_sdwa v57, v80, v58 dst_sel:DWORD dst_unused:UNUSED_PAD src0_sel:BYTE_0 src1_sel:DWORD
	v_lshlrev_b32_e32 v57, 4, v57
	global_load_dwordx4 v[59:62], v57, s[12:13]
	global_load_dwordx4 v[63:66], v57, s[12:13] offset:16
	global_load_dwordx4 v[67:70], v57, s[12:13] offset:32
	;; [unrolled: 1-line block ×4, first 2 shown]
	s_movk_i32 s15, 0x420
	v_mov_b32_e32 v57, 4
	v_mad_u32_u24 v79, v79, s15, 0
	v_lshlrev_b32_sdwa v80, v57, v80 dst_sel:DWORD dst_unused:UNUSED_PAD src0_sel:DWORD src1_sel:BYTE_0
	v_add3_u32 v89, v79, v80, v56
	s_mov_b32 s4, 0xe8584caa
	s_mov_b32 s5, 0xbfebb67a
	;; [unrolled: 1-line block ×4, first 2 shown]
	s_waitcnt vmcnt(0) lgkmcnt(0)
	s_barrier
	v_mul_f64 v[79:80], v[30:31], v[61:62]
	v_mul_f64 v[61:62], v[28:29], v[61:62]
	;; [unrolled: 1-line block ×10, first 2 shown]
	v_fma_f64 v[34:35], v[34:35], v[67:68], -v[83:84]
	v_fma_f64 v[38:39], v[38:39], v[71:72], -v[85:86]
	v_fma_f64 v[40:41], v[40:41], v[63:64], v[81:82]
	v_fma_f64 v[28:29], v[28:29], v[59:60], v[79:80]
	;; [unrolled: 1-line block ×4, first 2 shown]
	v_fma_f64 v[30:31], v[30:31], v[59:60], -v[61:62]
	v_fma_f64 v[42:43], v[42:43], v[63:64], -v[65:66]
	v_fma_f64 v[44:45], v[44:45], v[75:76], v[87:88]
	v_add_f64 v[59:60], v[34:35], v[38:39]
	v_fma_f64 v[46:47], v[46:47], v[75:76], -v[77:78]
	v_add_f64 v[61:62], v[24:25], v[40:41]
	v_add_f64 v[73:74], v[34:35], -v[38:39]
	v_add_f64 v[69:70], v[32:33], v[36:37]
	v_add_f64 v[71:72], v[32:33], -v[36:37]
	v_add_f64 v[67:68], v[26:27], v[42:43]
	v_add_f64 v[63:64], v[40:41], v[44:45]
	v_fma_f64 v[59:60], v[59:60], -0.5, v[30:31]
	v_add_f64 v[65:66], v[42:43], -v[46:47]
	v_add_f64 v[42:43], v[42:43], v[46:47]
	v_add_f64 v[40:41], v[40:41], -v[44:45]
	v_add_f64 v[32:33], v[28:29], v[32:33]
	v_add_f64 v[30:31], v[30:31], v[34:35]
	;; [unrolled: 1-line block ×3, first 2 shown]
	v_fma_f64 v[28:29], v[69:70], -0.5, v[28:29]
	v_fma_f64 v[44:45], v[71:72], s[6:7], v[59:60]
	v_fma_f64 v[59:60], v[71:72], s[4:5], v[59:60]
	v_fma_f64 v[24:25], v[63:64], -0.5, v[24:25]
	v_fma_f64 v[26:27], v[42:43], -0.5, v[26:27]
	v_add_f64 v[32:33], v[32:33], v[36:37]
	v_add_f64 v[30:31], v[30:31], v[38:39]
	;; [unrolled: 1-line block ×3, first 2 shown]
	v_fma_f64 v[36:37], v[73:74], s[4:5], v[28:29]
	v_mul_f64 v[38:39], v[44:45], s[4:5]
	v_mul_f64 v[44:45], v[44:45], 0.5
	v_fma_f64 v[28:29], v[73:74], s[6:7], v[28:29]
	v_mul_f64 v[42:43], v[59:60], s[4:5]
	v_mul_f64 v[59:60], v[59:60], -0.5
	v_fma_f64 v[61:62], v[65:66], s[4:5], v[24:25]
	v_fma_f64 v[63:64], v[65:66], s[6:7], v[24:25]
	;; [unrolled: 1-line block ×4, first 2 shown]
	v_fma_f64 v[40:41], v[36:37], 0.5, v[38:39]
	v_fma_f64 v[69:70], v[36:37], s[6:7], v[44:45]
	v_fma_f64 v[42:43], v[28:29], -0.5, v[42:43]
	v_fma_f64 v[59:60], v[28:29], s[6:7], v[59:60]
	v_add_f64 v[24:25], v[34:35], v[32:33]
	v_add_f64 v[26:27], v[46:47], v[30:31]
	v_add_f64 v[28:29], v[34:35], -v[32:33]
	v_add_f64 v[30:31], v[46:47], -v[30:31]
	v_add_f64 v[32:33], v[61:62], v[40:41]
	v_add_f64 v[34:35], v[65:66], v[69:70]
	;; [unrolled: 1-line block ×4, first 2 shown]
	v_add_f64 v[40:41], v[61:62], -v[40:41]
	v_add_f64 v[44:45], v[63:64], -v[42:43]
	;; [unrolled: 1-line block ×4, first 2 shown]
	ds_write_b128 v89, v[24:27]
	ds_write_b128 v89, v[28:31] offset:528
	ds_write_b128 v89, v[32:35] offset:176
	;; [unrolled: 1-line block ×5, first 2 shown]
	s_and_saveexec_b64 s[8:9], vcc
	s_cbranch_execz .LBB0_25
; %bb.24:
	v_add_u16_e32 v24, 0x42, v52
	v_mul_lo_u16_sdwa v25, v24, s14 dst_sel:DWORD dst_unused:UNUSED_PAD src0_sel:BYTE_0 src1_sel:DWORD
	v_sub_u16_sdwa v26, v24, v25 dst_sel:DWORD dst_unused:UNUSED_PAD src0_sel:DWORD src1_sel:BYTE_1
	v_lshrrev_b16_e32 v26, 1, v26
	v_and_b32_e32 v26, 0x7f, v26
	v_add_u16_sdwa v25, v26, v25 dst_sel:DWORD dst_unused:UNUSED_PAD src0_sel:DWORD src1_sel:BYTE_1
	v_lshrrev_b16_e32 v64, 3, v25
	v_mul_lo_u16_e32 v25, 11, v64
	v_sub_u16_e32 v65, v24, v25
	v_mul_u32_u24_sdwa v24, v65, v58 dst_sel:DWORD dst_unused:UNUSED_PAD src0_sel:BYTE_0 src1_sel:DWORD
	v_lshlrev_b32_e32 v44, 4, v24
	global_load_dwordx4 v[24:27], v44, s[12:13] offset:16
	global_load_dwordx4 v[28:31], v44, s[12:13] offset:48
	global_load_dwordx4 v[32:35], v44, s[12:13] offset:32
	global_load_dwordx4 v[36:39], v44, s[12:13] offset:64
	global_load_dwordx4 v[40:43], v44, s[12:13]
	s_waitcnt vmcnt(4)
	v_mul_f64 v[44:45], v[8:9], v[26:27]
	s_waitcnt vmcnt(3)
	v_mul_f64 v[46:47], v[0:1], v[30:31]
	;; [unrolled: 2-line block ×4, first 2 shown]
	v_mul_f64 v[26:27], v[10:11], v[26:27]
	s_waitcnt vmcnt(0)
	v_mul_f64 v[62:63], v[18:19], v[42:43]
	v_mul_f64 v[34:35], v[6:7], v[34:35]
	;; [unrolled: 1-line block ×5, first 2 shown]
	v_fma_f64 v[6:7], v[6:7], v[32:33], -v[58:59]
	v_fma_f64 v[22:23], v[22:23], v[36:37], -v[60:61]
	;; [unrolled: 1-line block ×4, first 2 shown]
	v_fma_f64 v[8:9], v[8:9], v[24:25], v[26:27]
	v_fma_f64 v[4:5], v[4:5], v[32:33], v[34:35]
	;; [unrolled: 1-line block ×3, first 2 shown]
	v_fma_f64 v[18:19], v[18:19], v[40:41], -v[42:43]
	v_fma_f64 v[0:1], v[0:1], v[28:29], v[30:31]
	v_add_f64 v[24:25], v[6:7], v[22:23]
	v_fma_f64 v[16:17], v[16:17], v[40:41], v[62:63]
	v_add_f64 v[26:27], v[10:11], v[2:3]
	v_add_f64 v[30:31], v[6:7], -v[22:23]
	v_add_f64 v[36:37], v[14:15], v[10:11]
	v_add_f64 v[32:33], v[4:5], v[20:21]
	v_add_f64 v[34:35], v[4:5], -v[20:21]
	v_add_f64 v[6:7], v[18:19], v[6:7]
	v_fma_f64 v[18:19], v[24:25], -0.5, v[18:19]
	v_add_f64 v[28:29], v[8:9], -v[0:1]
	v_add_f64 v[10:11], v[10:11], -v[2:3]
	v_add_f64 v[24:25], v[8:9], v[0:1]
	v_add_f64 v[4:5], v[16:17], v[4:5]
	v_fma_f64 v[14:15], v[26:27], -0.5, v[14:15]
	v_fma_f64 v[16:17], v[32:33], -0.5, v[16:17]
	v_add_f64 v[26:27], v[36:37], v[2:3]
	v_fma_f64 v[2:3], v[34:35], s[4:5], v[18:19]
	v_fma_f64 v[18:19], v[34:35], s[6:7], v[18:19]
	v_add_f64 v[8:9], v[12:13], v[8:9]
	v_add_f64 v[6:7], v[6:7], v[22:23]
	v_fma_f64 v[12:13], v[24:25], -0.5, v[12:13]
	v_add_f64 v[4:5], v[4:5], v[20:21]
	v_fma_f64 v[20:21], v[30:31], s[6:7], v[16:17]
	v_fma_f64 v[16:17], v[30:31], s[4:5], v[16:17]
	;; [unrolled: 1-line block ×3, first 2 shown]
	v_mul_f64 v[22:23], v[18:19], 0.5
	v_fma_f64 v[28:29], v[28:29], s[6:7], v[14:15]
	v_mul_f64 v[14:15], v[18:19], s[4:5]
	v_add_f64 v[8:9], v[8:9], v[0:1]
	v_mul_f64 v[0:1], v[2:3], -0.5
	v_mul_f64 v[18:19], v[2:3], s[4:5]
	v_fma_f64 v[30:31], v[10:11], s[6:7], v[12:13]
	v_fma_f64 v[12:13], v[10:11], s[4:5], v[12:13]
	;; [unrolled: 1-line block ×3, first 2 shown]
	v_add_f64 v[2:3], v[26:27], -v[6:7]
	v_fma_f64 v[34:35], v[16:17], 0.5, v[14:15]
	v_add_f64 v[6:7], v[26:27], v[6:7]
	v_fma_f64 v[32:33], v[20:21], s[6:7], v[0:1]
	v_fma_f64 v[36:37], v[20:21], -0.5, v[18:19]
	v_add_f64 v[0:1], v[8:9], -v[4:5]
	v_add_f64 v[4:5], v[8:9], v[4:5]
	v_add_f64 v[14:15], v[28:29], -v[22:23]
	v_add_f64 v[22:23], v[28:29], v[22:23]
	v_add_f64 v[20:21], v[12:13], v[34:35]
	v_add_f64 v[12:13], v[12:13], -v[34:35]
	v_add_f64 v[18:19], v[24:25], v[32:33]
	v_add_f64 v[16:17], v[30:31], v[36:37]
	v_add_f64 v[10:11], v[24:25], -v[32:33]
	v_add_f64 v[8:9], v[30:31], -v[36:37]
	v_mad_u32_u24 v38, v64, s15, 0
	v_lshlrev_b32_sdwa v24, v57, v65 dst_sel:DWORD dst_unused:UNUSED_PAD src0_sel:DWORD src1_sel:BYTE_0
	v_add3_u32 v24, v38, v24, v56
	ds_write_b128 v24, v[4:7]
	ds_write_b128 v24, v[0:3] offset:528
	ds_write_b128 v24, v[20:23] offset:176
	;; [unrolled: 1-line block ×5, first 2 shown]
.LBB0_25:
	s_or_b64 exec, exec, s[8:9]
	v_mul_u32_u24_e32 v0, 10, v52
	v_lshlrev_b32_e32 v40, 4, v0
	s_waitcnt lgkmcnt(0)
	s_barrier
	global_load_dwordx4 v[0:3], v40, s[12:13] offset:880
	global_load_dwordx4 v[4:7], v40, s[12:13] offset:896
	;; [unrolled: 1-line block ×10, first 2 shown]
	ds_read_b128 v[40:43], v55
	ds_read_b128 v[44:47], v53 offset:1056
	ds_read_b128 v[55:58], v53 offset:2112
	;; [unrolled: 1-line block ×10, first 2 shown]
	s_mov_b32 s22, 0xf8bb580b
	s_mov_b32 s4, 0x8eee2c13
	;; [unrolled: 1-line block ×30, first 2 shown]
	s_waitcnt vmcnt(0) lgkmcnt(0)
	s_barrier
	v_mul_f64 v[91:92], v[46:47], v[2:3]
	v_mul_f64 v[2:3], v[44:45], v[2:3]
	;; [unrolled: 1-line block ×18, first 2 shown]
	v_fma_f64 v[44:45], v[44:45], v[0:1], v[91:92]
	v_fma_f64 v[0:1], v[46:47], v[0:1], -v[2:3]
	v_mul_f64 v[2:3], v[89:90], v[38:39]
	v_mul_f64 v[38:39], v[87:88], v[38:39]
	v_fma_f64 v[46:47], v[55:56], v[4:5], v[93:94]
	v_fma_f64 v[4:5], v[57:58], v[4:5], -v[6:7]
	v_fma_f64 v[6:7], v[59:60], v[8:9], v[95:96]
	v_fma_f64 v[8:9], v[61:62], v[8:9], -v[10:11]
	;; [unrolled: 2-line block ×9, first 2 shown]
	v_add_f64 v[34:35], v[40:41], v[44:45]
	v_add_f64 v[38:39], v[42:43], v[0:1]
	;; [unrolled: 1-line block ×4, first 2 shown]
	v_add_f64 v[0:1], v[0:1], -v[26:27]
	v_add_f64 v[44:45], v[44:45], -v[2:3]
	v_add_f64 v[59:60], v[46:47], v[30:31]
	v_add_f64 v[63:64], v[46:47], -v[30:31]
	v_add_f64 v[34:35], v[34:35], v[46:47]
	v_add_f64 v[38:39], v[38:39], v[4:5]
	;; [unrolled: 1-line block ×3, first 2 shown]
	v_add_f64 v[4:5], v[4:5], -v[32:33]
	v_mul_f64 v[46:47], v[0:1], s[22:23]
	v_mul_f64 v[67:68], v[0:1], s[4:5]
	;; [unrolled: 1-line block ×4, first 2 shown]
	v_add_f64 v[34:35], v[34:35], v[6:7]
	v_add_f64 v[38:39], v[38:39], v[8:9]
	v_mul_f64 v[0:1], v[0:1], s[30:31]
	v_mul_f64 v[69:70], v[57:58], s[6:7]
	;; [unrolled: 1-line block ×3, first 2 shown]
	v_fma_f64 v[83:84], v[55:56], s[16:17], v[46:47]
	v_fma_f64 v[46:47], v[55:56], s[16:17], -v[46:47]
	v_fma_f64 v[87:88], v[55:56], s[6:7], v[67:68]
	v_add_f64 v[34:35], v[34:35], v[10:11]
	v_add_f64 v[38:39], v[38:39], v[12:13]
	v_fma_f64 v[67:68], v[55:56], s[6:7], -v[67:68]
	v_fma_f64 v[91:92], v[55:56], s[14:15], v[71:72]
	v_fma_f64 v[71:72], v[55:56], s[14:15], -v[71:72]
	v_fma_f64 v[95:96], v[55:56], s[26:27], v[75:76]
	;; [unrolled: 2-line block ×3, first 2 shown]
	v_add_f64 v[34:35], v[34:35], v[14:15]
	v_add_f64 v[38:39], v[38:39], v[16:17]
	v_fma_f64 v[55:56], v[55:56], s[34:35], -v[0:1]
	v_mul_f64 v[65:66], v[57:58], s[16:17]
	v_mul_f64 v[77:78], v[57:58], s[26:27]
	;; [unrolled: 1-line block ×4, first 2 shown]
	v_fma_f64 v[89:90], v[44:45], s[12:13], v[69:70]
	v_add_f64 v[34:35], v[34:35], v[18:19]
	v_add_f64 v[38:39], v[38:39], v[20:21]
	v_fma_f64 v[93:94], v[44:45], s[18:19], v[73:74]
	v_mul_f64 v[81:82], v[61:62], s[6:7]
	v_fma_f64 v[85:86], v[44:45], s[20:21], v[65:66]
	v_fma_f64 v[65:66], v[44:45], s[22:23], v[65:66]
	;; [unrolled: 1-line block ×4, first 2 shown]
	v_add_f64 v[34:35], v[34:35], v[22:23]
	v_add_f64 v[38:39], v[38:39], v[24:25]
	v_fma_f64 v[97:98], v[44:45], s[28:29], v[77:78]
	v_fma_f64 v[77:78], v[44:45], s[24:25], v[77:78]
	;; [unrolled: 1-line block ×3, first 2 shown]
	v_add_f64 v[83:84], v[40:41], v[83:84]
	v_add_f64 v[85:86], v[42:43], v[85:86]
	;; [unrolled: 1-line block ×9, first 2 shown]
	v_mul_f64 v[93:94], v[61:62], s[26:27]
	v_add_f64 v[65:66], v[42:43], v[65:66]
	v_add_f64 v[0:1], v[0:1], v[30:31]
	;; [unrolled: 1-line block ×5, first 2 shown]
	v_fma_f64 v[95:96], v[59:60], s[6:7], v[79:80]
	v_add_f64 v[67:68], v[40:41], v[67:68]
	v_add_f64 v[69:70], v[42:43], v[69:70]
	;; [unrolled: 1-line block ×5, first 2 shown]
	v_fma_f64 v[26:27], v[44:45], s[30:31], v[57:58]
	v_mul_f64 v[57:58], v[4:5], s[24:25]
	v_add_f64 v[73:74], v[42:43], v[97:98]
	v_add_f64 v[75:76], v[40:41], v[75:76]
	v_add_f64 v[77:78], v[42:43], v[77:78]
	v_add_f64 v[30:31], v[40:41], v[99:100]
	v_add_f64 v[44:45], v[42:43], v[101:102]
	v_fma_f64 v[97:98], v[63:64], s[12:13], v[81:82]
	v_add_f64 v[40:41], v[40:41], v[55:56]
	v_add_f64 v[26:27], v[42:43], v[26:27]
	v_fma_f64 v[42:43], v[59:60], s[6:7], -v[79:80]
	v_fma_f64 v[55:56], v[63:64], s[4:5], v[81:82]
	v_fma_f64 v[79:80], v[59:60], s[26:27], v[57:58]
	;; [unrolled: 1-line block ×3, first 2 shown]
	v_add_f64 v[83:84], v[95:96], v[83:84]
	v_mul_f64 v[95:96], v[4:5], s[36:37]
	v_add_f64 v[85:86], v[97:98], v[85:86]
	v_mul_f64 v[97:98], v[61:62], s[34:35]
	v_add_f64 v[42:43], v[42:43], v[46:47]
	v_add_f64 v[46:47], v[55:56], v[65:66]
	;; [unrolled: 1-line block ×4, first 2 shown]
	v_fma_f64 v[57:58], v[59:60], s[26:27], -v[57:58]
	v_fma_f64 v[79:80], v[59:60], s[34:35], v[95:96]
	v_mul_f64 v[87:88], v[4:5], s[18:19]
	v_fma_f64 v[65:66], v[63:64], s[24:25], v[93:94]
	v_fma_f64 v[81:82], v[63:64], s[30:31], v[97:98]
	v_mul_f64 v[93:94], v[61:62], s[14:15]
	v_mul_f64 v[4:5], v[4:5], s[20:21]
	;; [unrolled: 1-line block ×3, first 2 shown]
	v_add_f64 v[57:58], v[57:58], v[67:68]
	v_add_f64 v[67:68], v[79:80], v[89:90]
	v_fma_f64 v[79:80], v[59:60], s[14:15], v[87:88]
	v_add_f64 v[65:66], v[65:66], v[69:70]
	v_add_f64 v[69:70], v[81:82], v[91:92]
	v_fma_f64 v[81:82], v[63:64], s[8:9], v[93:94]
	v_fma_f64 v[87:88], v[59:60], s[14:15], -v[87:88]
	v_fma_f64 v[89:90], v[63:64], s[18:19], v[93:94]
	v_fma_f64 v[95:96], v[59:60], s[34:35], -v[95:96]
	v_fma_f64 v[97:98], v[63:64], s[36:37], v[97:98]
	v_add_f64 v[71:72], v[79:80], v[71:72]
	v_add_f64 v[79:80], v[8:9], -v[28:29]
	v_add_f64 v[8:9], v[8:9], v[28:29]
	v_add_f64 v[73:74], v[81:82], v[73:74]
	;; [unrolled: 1-line block ×4, first 2 shown]
	v_fma_f64 v[77:78], v[59:60], s[16:17], v[4:5]
	v_fma_f64 v[81:82], v[63:64], s[22:23], v[61:62]
	v_add_f64 v[87:88], v[6:7], v[36:37]
	v_add_f64 v[6:7], v[6:7], -v[36:37]
	v_mul_f64 v[36:37], v[79:80], s[8:9]
	v_mul_f64 v[89:90], v[8:9], s[14:15]
	v_fma_f64 v[4:5], v[59:60], s[16:17], -v[4:5]
	v_fma_f64 v[59:60], v[63:64], s[20:21], v[61:62]
	v_add_f64 v[30:31], v[77:78], v[30:31]
	v_add_f64 v[44:45], v[81:82], v[44:45]
	v_mul_f64 v[61:62], v[79:80], s[36:37]
	v_mul_f64 v[63:64], v[8:9], s[34:35]
	v_fma_f64 v[77:78], v[87:88], s[14:15], v[36:37]
	v_fma_f64 v[81:82], v[6:7], s[18:19], v[89:90]
	v_add_f64 v[4:5], v[4:5], v[40:41]
	v_add_f64 v[26:27], v[59:60], v[26:27]
	v_fma_f64 v[36:37], v[87:88], s[14:15], -v[36:37]
	v_fma_f64 v[40:41], v[6:7], s[8:9], v[89:90]
	v_fma_f64 v[59:60], v[87:88], s[34:35], v[61:62]
	;; [unrolled: 1-line block ×3, first 2 shown]
	v_add_f64 v[77:78], v[77:78], v[83:84]
	v_add_f64 v[81:82], v[81:82], v[85:86]
	v_mul_f64 v[83:84], v[79:80], s[12:13]
	v_mul_f64 v[85:86], v[8:9], s[6:7]
	v_add_f64 v[36:37], v[36:37], v[42:43]
	v_add_f64 v[40:41], v[40:41], v[46:47]
	;; [unrolled: 1-line block ×4, first 2 shown]
	v_fma_f64 v[46:47], v[87:88], s[34:35], -v[61:62]
	v_fma_f64 v[55:56], v[6:7], s[36:37], v[63:64]
	v_fma_f64 v[59:60], v[87:88], s[6:7], v[83:84]
	;; [unrolled: 1-line block ×3, first 2 shown]
	v_mul_f64 v[63:64], v[79:80], s[22:23]
	v_mul_f64 v[89:90], v[8:9], s[16:17]
	;; [unrolled: 1-line block ×3, first 2 shown]
	v_fma_f64 v[85:86], v[6:7], s[12:13], v[85:86]
	v_add_f64 v[46:47], v[46:47], v[57:58]
	v_add_f64 v[55:56], v[55:56], v[65:66]
	;; [unrolled: 1-line block ×4, first 2 shown]
	v_fma_f64 v[61:62], v[87:88], s[16:17], v[63:64]
	v_fma_f64 v[65:66], v[6:7], s[20:21], v[89:90]
	v_mul_f64 v[67:68], v[79:80], s[24:25]
	v_fma_f64 v[63:64], v[87:88], s[16:17], -v[63:64]
	v_fma_f64 v[69:70], v[6:7], s[22:23], v[89:90]
	v_add_f64 v[32:33], v[95:96], v[32:33]
	v_add_f64 v[34:35], v[97:98], v[34:35]
	v_fma_f64 v[83:84], v[87:88], s[6:7], -v[83:84]
	v_add_f64 v[61:62], v[61:62], v[71:72]
	v_add_f64 v[65:66], v[65:66], v[73:74]
	v_add_f64 v[71:72], v[12:13], -v[24:25]
	v_add_f64 v[12:13], v[12:13], v[24:25]
	v_fma_f64 v[24:25], v[87:88], s[26:27], v[67:68]
	v_fma_f64 v[73:74], v[6:7], s[28:29], v[8:9]
	v_add_f64 v[28:29], v[63:64], v[28:29]
	v_add_f64 v[63:64], v[69:70], v[75:76]
	;; [unrolled: 1-line block ×3, first 2 shown]
	v_add_f64 v[10:11], v[10:11], -v[22:23]
	v_mul_f64 v[22:23], v[71:72], s[24:25]
	v_mul_f64 v[75:76], v[12:13], s[26:27]
	v_add_f64 v[24:25], v[24:25], v[30:31]
	v_add_f64 v[30:31], v[73:74], v[44:45]
	v_fma_f64 v[44:45], v[87:88], s[26:27], -v[67:68]
	v_fma_f64 v[6:7], v[6:7], s[24:25], v[8:9]
	v_mul_f64 v[8:9], v[71:72], s[18:19]
	v_mul_f64 v[67:68], v[12:13], s[14:15]
	v_fma_f64 v[73:74], v[69:70], s[26:27], v[22:23]
	v_fma_f64 v[79:80], v[10:11], s[28:29], v[75:76]
	v_fma_f64 v[22:23], v[69:70], s[26:27], -v[22:23]
	v_fma_f64 v[75:76], v[10:11], s[24:25], v[75:76]
	v_add_f64 v[4:5], v[44:45], v[4:5]
	v_add_f64 v[6:7], v[6:7], v[26:27]
	v_fma_f64 v[26:27], v[69:70], s[14:15], v[8:9]
	v_fma_f64 v[44:45], v[10:11], s[8:9], v[67:68]
	v_add_f64 v[32:33], v[83:84], v[32:33]
	v_add_f64 v[34:35], v[85:86], v[34:35]
	;; [unrolled: 1-line block ×4, first 2 shown]
	v_mul_f64 v[40:41], v[71:72], s[22:23]
	v_add_f64 v[73:74], v[73:74], v[77:78]
	v_add_f64 v[26:27], v[26:27], v[38:39]
	;; [unrolled: 1-line block ×3, first 2 shown]
	v_mul_f64 v[42:43], v[71:72], s[30:31]
	v_mul_f64 v[44:45], v[12:13], s[34:35]
	v_add_f64 v[77:78], v[79:80], v[81:82]
	v_fma_f64 v[8:9], v[69:70], s[14:15], -v[8:9]
	v_fma_f64 v[79:80], v[69:70], s[16:17], v[40:41]
	v_fma_f64 v[40:41], v[69:70], s[16:17], -v[40:41]
	v_mul_f64 v[75:76], v[12:13], s[16:17]
	v_fma_f64 v[67:68], v[10:11], s[18:19], v[67:68]
	v_fma_f64 v[83:84], v[69:70], s[34:35], v[42:43]
	;; [unrolled: 1-line block ×3, first 2 shown]
	v_mul_f64 v[12:13], v[12:13], s[6:7]
	v_add_f64 v[46:47], v[8:9], v[46:47]
	v_mul_f64 v[8:9], v[71:72], s[12:13]
	v_add_f64 v[32:33], v[40:41], v[32:33]
	v_fma_f64 v[81:82], v[10:11], s[20:21], v[75:76]
	v_fma_f64 v[75:76], v[10:11], s[22:23], v[75:76]
	v_add_f64 v[40:41], v[83:84], v[61:62]
	v_add_f64 v[61:62], v[85:86], v[65:66]
	v_add_f64 v[65:66], v[16:17], -v[20:21]
	v_add_f64 v[55:56], v[67:68], v[55:56]
	v_add_f64 v[67:68], v[16:17], v[20:21]
	v_fma_f64 v[16:17], v[69:70], s[34:35], -v[42:43]
	v_fma_f64 v[20:21], v[10:11], s[30:31], v[44:45]
	v_add_f64 v[42:43], v[14:15], v[18:19]
	v_add_f64 v[44:45], v[14:15], -v[18:19]
	v_fma_f64 v[71:72], v[69:70], s[6:7], v[8:9]
	v_mul_f64 v[14:15], v[65:66], s[30:31]
	v_add_f64 v[34:35], v[75:76], v[34:35]
	v_mul_f64 v[18:19], v[67:68], s[34:35]
	v_fma_f64 v[75:76], v[10:11], s[4:5], v[12:13]
	v_add_f64 v[63:64], v[20:21], v[63:64]
	v_fma_f64 v[8:9], v[69:70], s[6:7], -v[8:9]
	v_fma_f64 v[10:11], v[10:11], s[12:13], v[12:13]
	v_mul_f64 v[20:21], v[65:66], s[20:21]
	v_fma_f64 v[12:13], v[42:43], s[34:35], v[14:15]
	v_add_f64 v[69:70], v[71:72], v[24:25]
	v_mul_f64 v[24:25], v[67:68], s[16:17]
	v_add_f64 v[57:58], v[79:80], v[57:58]
	v_add_f64 v[79:80], v[16:17], v[28:29]
	v_fma_f64 v[16:17], v[44:45], s[36:37], v[18:19]
	v_add_f64 v[71:72], v[75:76], v[30:31]
	v_add_f64 v[75:76], v[8:9], v[4:5]
	;; [unrolled: 1-line block ×3, first 2 shown]
	v_fma_f64 v[8:9], v[42:43], s[34:35], -v[14:15]
	v_fma_f64 v[12:13], v[42:43], s[16:17], v[20:21]
	v_mul_f64 v[28:29], v[65:66], s[24:25]
	v_mul_f64 v[30:31], v[67:68], s[26:27]
	v_add_f64 v[59:60], v[81:82], v[59:60]
	v_add_f64 v[81:82], v[10:11], v[6:7]
	v_fma_f64 v[10:11], v[44:45], s[30:31], v[18:19]
	v_fma_f64 v[14:15], v[44:45], s[22:23], v[24:25]
	v_add_f64 v[6:7], v[16:17], v[77:78]
	v_fma_f64 v[16:17], v[42:43], s[16:17], -v[20:21]
	v_fma_f64 v[18:19], v[44:45], s[20:21], v[24:25]
	v_add_f64 v[8:9], v[8:9], v[22:23]
	v_add_f64 v[12:13], v[12:13], v[26:27]
	v_fma_f64 v[20:21], v[42:43], s[26:27], v[28:29]
	v_fma_f64 v[22:23], v[44:45], s[28:29], v[30:31]
	v_fma_f64 v[24:25], v[42:43], s[26:27], -v[28:29]
	v_fma_f64 v[26:27], v[44:45], s[24:25], v[30:31]
	v_mul_f64 v[28:29], v[65:66], s[12:13]
	v_mul_f64 v[30:31], v[67:68], s[6:7]
	v_add_f64 v[10:11], v[10:11], v[36:37]
	v_add_f64 v[14:15], v[14:15], v[38:39]
	v_mul_f64 v[36:37], v[65:66], s[8:9]
	v_mul_f64 v[38:39], v[67:68], s[14:15]
	v_add_f64 v[24:25], v[24:25], v[32:33]
	v_add_f64 v[26:27], v[26:27], v[34:35]
	v_fma_f64 v[32:33], v[42:43], s[6:7], v[28:29]
	v_fma_f64 v[34:35], v[44:45], s[4:5], v[30:31]
	v_add_f64 v[20:21], v[20:21], v[57:58]
	v_add_f64 v[22:23], v[22:23], v[59:60]
	v_fma_f64 v[57:58], v[42:43], s[14:15], v[36:37]
	v_fma_f64 v[59:60], v[44:45], s[18:19], v[38:39]
	v_add_f64 v[16:17], v[16:17], v[46:47]
	v_add_f64 v[18:19], v[18:19], v[55:56]
	v_fma_f64 v[46:47], v[42:43], s[6:7], -v[28:29]
	v_fma_f64 v[55:56], v[44:45], s[12:13], v[30:31]
	v_fma_f64 v[42:43], v[42:43], s[14:15], -v[36:37]
	v_fma_f64 v[44:45], v[44:45], s[8:9], v[38:39]
	v_add_f64 v[28:29], v[32:33], v[40:41]
	v_add_f64 v[30:31], v[34:35], v[61:62]
	;; [unrolled: 1-line block ×8, first 2 shown]
	ds_write_b128 v53, v[0:3]
	ds_write_b128 v53, v[4:7] offset:1056
	ds_write_b128 v53, v[12:15] offset:2112
	;; [unrolled: 1-line block ×10, first 2 shown]
	s_waitcnt lgkmcnt(0)
	s_barrier
	s_and_saveexec_b64 s[4:5], s[0:1]
	s_cbranch_execz .LBB0_27
; %bb.26:
	v_mul_lo_u32 v0, s3, v50
	v_mul_lo_u32 v1, s2, v51
	v_mad_u64_u32 v[4:5], s[0:1], s2, v50, 0
	v_mov_b32_e32 v6, s11
	v_lshl_add_u32 v10, v52, 4, v54
	v_add3_u32 v5, v5, v1, v0
	v_lshlrev_b64 v[4:5], 4, v[4:5]
	v_mov_b32_e32 v53, 0
	v_add_co_u32_e32 v7, vcc, s10, v4
	v_addc_co_u32_e32 v6, vcc, v6, v5, vcc
	v_lshlrev_b64 v[4:5], 4, v[48:49]
	ds_read_b128 v[0:3], v10
	v_add_co_u32_e32 v11, vcc, v7, v4
	v_addc_co_u32_e32 v12, vcc, v6, v5, vcc
	v_lshlrev_b64 v[4:5], 4, v[52:53]
	v_add_co_u32_e32 v8, vcc, v11, v4
	v_addc_co_u32_e32 v9, vcc, v12, v5, vcc
	ds_read_b128 v[4:7], v10 offset:1056
	s_waitcnt lgkmcnt(1)
	global_store_dwordx4 v[8:9], v[0:3], off
	s_nop 0
	v_add_u32_e32 v0, 0x42, v52
	v_mov_b32_e32 v1, v53
	v_lshlrev_b64 v[0:1], 4, v[0:1]
	v_add_co_u32_e32 v0, vcc, v11, v0
	v_addc_co_u32_e32 v1, vcc, v12, v1, vcc
	s_waitcnt lgkmcnt(0)
	global_store_dwordx4 v[0:1], v[4:7], off
	ds_read_b128 v[0:3], v10 offset:2112
	v_add_u32_e32 v4, 0x84, v52
	v_mov_b32_e32 v5, v53
	v_lshlrev_b64 v[4:5], 4, v[4:5]
	v_add_co_u32_e32 v8, vcc, v11, v4
	v_addc_co_u32_e32 v9, vcc, v12, v5, vcc
	ds_read_b128 v[4:7], v10 offset:3168
	s_waitcnt lgkmcnt(1)
	global_store_dwordx4 v[8:9], v[0:3], off
	s_nop 0
	v_add_u32_e32 v0, 0xc6, v52
	v_mov_b32_e32 v1, v53
	v_lshlrev_b64 v[0:1], 4, v[0:1]
	v_add_co_u32_e32 v0, vcc, v11, v0
	v_addc_co_u32_e32 v1, vcc, v12, v1, vcc
	s_waitcnt lgkmcnt(0)
	global_store_dwordx4 v[0:1], v[4:7], off
	ds_read_b128 v[0:3], v10 offset:4224
	v_add_u32_e32 v4, 0x108, v52
	v_mov_b32_e32 v5, v53
	v_lshlrev_b64 v[4:5], 4, v[4:5]
	v_add_co_u32_e32 v8, vcc, v11, v4
	v_addc_co_u32_e32 v9, vcc, v12, v5, vcc
	ds_read_b128 v[4:7], v10 offset:5280
	s_waitcnt lgkmcnt(1)
	global_store_dwordx4 v[8:9], v[0:3], off
	s_nop 0
	v_add_u32_e32 v0, 0x14a, v52
	v_mov_b32_e32 v1, v53
	v_lshlrev_b64 v[0:1], 4, v[0:1]
	v_add_co_u32_e32 v0, vcc, v11, v0
	v_addc_co_u32_e32 v1, vcc, v12, v1, vcc
	s_waitcnt lgkmcnt(0)
	global_store_dwordx4 v[0:1], v[4:7], off
	ds_read_b128 v[0:3], v10 offset:6336
	v_add_u32_e32 v4, 0x18c, v52
	v_mov_b32_e32 v5, v53
	v_lshlrev_b64 v[4:5], 4, v[4:5]
	v_add_co_u32_e32 v8, vcc, v11, v4
	v_addc_co_u32_e32 v9, vcc, v12, v5, vcc
	ds_read_b128 v[4:7], v10 offset:7392
	s_waitcnt lgkmcnt(1)
	global_store_dwordx4 v[8:9], v[0:3], off
	s_nop 0
	v_add_u32_e32 v0, 0x1ce, v52
	v_mov_b32_e32 v1, v53
	v_lshlrev_b64 v[0:1], 4, v[0:1]
	v_add_co_u32_e32 v0, vcc, v11, v0
	v_addc_co_u32_e32 v1, vcc, v12, v1, vcc
	s_waitcnt lgkmcnt(0)
	global_store_dwordx4 v[0:1], v[4:7], off
	ds_read_b128 v[0:3], v10 offset:8448
	v_add_u32_e32 v4, 0x210, v52
	v_mov_b32_e32 v5, v53
	v_lshlrev_b64 v[4:5], 4, v[4:5]
	v_add_co_u32_e32 v8, vcc, v11, v4
	v_addc_co_u32_e32 v9, vcc, v12, v5, vcc
	ds_read_b128 v[4:7], v10 offset:9504
	s_waitcnt lgkmcnt(1)
	global_store_dwordx4 v[8:9], v[0:3], off
	s_nop 0
	v_add_u32_e32 v0, 0x252, v52
	v_mov_b32_e32 v1, v53
	v_lshlrev_b64 v[0:1], 4, v[0:1]
	v_add_u32_e32 v52, 0x294, v52
	v_add_co_u32_e32 v0, vcc, v11, v0
	v_addc_co_u32_e32 v1, vcc, v12, v1, vcc
	s_waitcnt lgkmcnt(0)
	global_store_dwordx4 v[0:1], v[4:7], off
	ds_read_b128 v[0:3], v10 offset:10560
	v_lshlrev_b64 v[4:5], 4, v[52:53]
	v_add_co_u32_e32 v4, vcc, v11, v4
	v_addc_co_u32_e32 v5, vcc, v12, v5, vcc
	s_waitcnt lgkmcnt(0)
	global_store_dwordx4 v[4:5], v[0:3], off
.LBB0_27:
	s_endpgm
	.section	.rodata,"a",@progbits
	.p2align	6, 0x0
	.amdhsa_kernel fft_rtc_back_len726_factors_11_6_11_wgs_132_tpt_66_dp_op_CI_CI_unitstride_sbrr_C2R_dirReg
		.amdhsa_group_segment_fixed_size 0
		.amdhsa_private_segment_fixed_size 0
		.amdhsa_kernarg_size 104
		.amdhsa_user_sgpr_count 6
		.amdhsa_user_sgpr_private_segment_buffer 1
		.amdhsa_user_sgpr_dispatch_ptr 0
		.amdhsa_user_sgpr_queue_ptr 0
		.amdhsa_user_sgpr_kernarg_segment_ptr 1
		.amdhsa_user_sgpr_dispatch_id 0
		.amdhsa_user_sgpr_flat_scratch_init 0
		.amdhsa_user_sgpr_private_segment_size 0
		.amdhsa_uses_dynamic_stack 0
		.amdhsa_system_sgpr_private_segment_wavefront_offset 0
		.amdhsa_system_sgpr_workgroup_id_x 1
		.amdhsa_system_sgpr_workgroup_id_y 0
		.amdhsa_system_sgpr_workgroup_id_z 0
		.amdhsa_system_sgpr_workgroup_info 0
		.amdhsa_system_vgpr_workitem_id 0
		.amdhsa_next_free_vgpr 113
		.amdhsa_next_free_sgpr 40
		.amdhsa_reserve_vcc 1
		.amdhsa_reserve_flat_scratch 0
		.amdhsa_float_round_mode_32 0
		.amdhsa_float_round_mode_16_64 0
		.amdhsa_float_denorm_mode_32 3
		.amdhsa_float_denorm_mode_16_64 3
		.amdhsa_dx10_clamp 1
		.amdhsa_ieee_mode 1
		.amdhsa_fp16_overflow 0
		.amdhsa_exception_fp_ieee_invalid_op 0
		.amdhsa_exception_fp_denorm_src 0
		.amdhsa_exception_fp_ieee_div_zero 0
		.amdhsa_exception_fp_ieee_overflow 0
		.amdhsa_exception_fp_ieee_underflow 0
		.amdhsa_exception_fp_ieee_inexact 0
		.amdhsa_exception_int_div_zero 0
	.end_amdhsa_kernel
	.text
.Lfunc_end0:
	.size	fft_rtc_back_len726_factors_11_6_11_wgs_132_tpt_66_dp_op_CI_CI_unitstride_sbrr_C2R_dirReg, .Lfunc_end0-fft_rtc_back_len726_factors_11_6_11_wgs_132_tpt_66_dp_op_CI_CI_unitstride_sbrr_C2R_dirReg
                                        ; -- End function
	.section	.AMDGPU.csdata,"",@progbits
; Kernel info:
; codeLenInByte = 10952
; NumSgprs: 44
; NumVgprs: 113
; ScratchSize: 0
; MemoryBound: 0
; FloatMode: 240
; IeeeMode: 1
; LDSByteSize: 0 bytes/workgroup (compile time only)
; SGPRBlocks: 5
; VGPRBlocks: 28
; NumSGPRsForWavesPerEU: 44
; NumVGPRsForWavesPerEU: 113
; Occupancy: 2
; WaveLimiterHint : 1
; COMPUTE_PGM_RSRC2:SCRATCH_EN: 0
; COMPUTE_PGM_RSRC2:USER_SGPR: 6
; COMPUTE_PGM_RSRC2:TRAP_HANDLER: 0
; COMPUTE_PGM_RSRC2:TGID_X_EN: 1
; COMPUTE_PGM_RSRC2:TGID_Y_EN: 0
; COMPUTE_PGM_RSRC2:TGID_Z_EN: 0
; COMPUTE_PGM_RSRC2:TIDIG_COMP_CNT: 0
	.type	__hip_cuid_d3939c4bcdea569e,@object ; @__hip_cuid_d3939c4bcdea569e
	.section	.bss,"aw",@nobits
	.globl	__hip_cuid_d3939c4bcdea569e
__hip_cuid_d3939c4bcdea569e:
	.byte	0                               ; 0x0
	.size	__hip_cuid_d3939c4bcdea569e, 1

	.ident	"AMD clang version 19.0.0git (https://github.com/RadeonOpenCompute/llvm-project roc-6.4.0 25133 c7fe45cf4b819c5991fe208aaa96edf142730f1d)"
	.section	".note.GNU-stack","",@progbits
	.addrsig
	.addrsig_sym __hip_cuid_d3939c4bcdea569e
	.amdgpu_metadata
---
amdhsa.kernels:
  - .args:
      - .actual_access:  read_only
        .address_space:  global
        .offset:         0
        .size:           8
        .value_kind:     global_buffer
      - .offset:         8
        .size:           8
        .value_kind:     by_value
      - .actual_access:  read_only
        .address_space:  global
        .offset:         16
        .size:           8
        .value_kind:     global_buffer
      - .actual_access:  read_only
        .address_space:  global
        .offset:         24
        .size:           8
        .value_kind:     global_buffer
      - .actual_access:  read_only
        .address_space:  global
        .offset:         32
        .size:           8
        .value_kind:     global_buffer
      - .offset:         40
        .size:           8
        .value_kind:     by_value
      - .actual_access:  read_only
        .address_space:  global
        .offset:         48
        .size:           8
        .value_kind:     global_buffer
      - .actual_access:  read_only
        .address_space:  global
        .offset:         56
        .size:           8
        .value_kind:     global_buffer
      - .offset:         64
        .size:           4
        .value_kind:     by_value
      - .actual_access:  read_only
        .address_space:  global
        .offset:         72
        .size:           8
        .value_kind:     global_buffer
      - .actual_access:  read_only
        .address_space:  global
        .offset:         80
        .size:           8
        .value_kind:     global_buffer
      - .actual_access:  read_only
        .address_space:  global
        .offset:         88
        .size:           8
        .value_kind:     global_buffer
      - .actual_access:  write_only
        .address_space:  global
        .offset:         96
        .size:           8
        .value_kind:     global_buffer
    .group_segment_fixed_size: 0
    .kernarg_segment_align: 8
    .kernarg_segment_size: 104
    .language:       OpenCL C
    .language_version:
      - 2
      - 0
    .max_flat_workgroup_size: 132
    .name:           fft_rtc_back_len726_factors_11_6_11_wgs_132_tpt_66_dp_op_CI_CI_unitstride_sbrr_C2R_dirReg
    .private_segment_fixed_size: 0
    .sgpr_count:     44
    .sgpr_spill_count: 0
    .symbol:         fft_rtc_back_len726_factors_11_6_11_wgs_132_tpt_66_dp_op_CI_CI_unitstride_sbrr_C2R_dirReg.kd
    .uniform_work_group_size: 1
    .uses_dynamic_stack: false
    .vgpr_count:     113
    .vgpr_spill_count: 0
    .wavefront_size: 64
amdhsa.target:   amdgcn-amd-amdhsa--gfx906
amdhsa.version:
  - 1
  - 2
...

	.end_amdgpu_metadata
